;; amdgpu-corpus repo=ROCm/rocFFT kind=compiled arch=gfx906 opt=O3
	.text
	.amdgcn_target "amdgcn-amd-amdhsa--gfx906"
	.amdhsa_code_object_version 6
	.protected	bluestein_single_fwd_len1215_dim1_dp_op_CI_CI ; -- Begin function bluestein_single_fwd_len1215_dim1_dp_op_CI_CI
	.globl	bluestein_single_fwd_len1215_dim1_dp_op_CI_CI
	.p2align	8
	.type	bluestein_single_fwd_len1215_dim1_dp_op_CI_CI,@function
bluestein_single_fwd_len1215_dim1_dp_op_CI_CI: ; @bluestein_single_fwd_len1215_dim1_dp_op_CI_CI
; %bb.0:
	s_load_dwordx4 s[16:19], s[4:5], 0x28
	v_mul_u32_u24_e32 v1, 0x10e, v0
	v_add_u32_sdwa v124, s6, v1 dst_sel:DWORD dst_unused:UNUSED_PAD src0_sel:DWORD src1_sel:WORD_1
	v_mov_b32_e32 v125, 0
	s_waitcnt lgkmcnt(0)
	v_cmp_gt_u64_e32 vcc, s[16:17], v[124:125]
	s_and_saveexec_b64 s[0:1], vcc
	s_cbranch_execz .LBB0_42
; %bb.1:
	s_load_dwordx4 s[12:15], s[4:5], 0x18
	s_load_dwordx4 s[8:11], s[4:5], 0x0
	s_movk_i32 s6, 0xf3
	v_mul_lo_u16_sdwa v1, v1, s6 dst_sel:DWORD dst_unused:UNUSED_PAD src0_sel:WORD_1 src1_sel:DWORD
	v_sub_u16_e32 v126, v0, v1
	s_waitcnt lgkmcnt(0)
	s_load_dwordx4 s[0:3], s[12:13], 0x0
	v_lshlrev_b32_e32 v125, 4, v126
	s_load_dwordx2 s[12:13], s[4:5], 0x38
	s_mov_b32 s23, 0xbfee6f0e
	s_mov_b32 s16, 0x372fe950
	s_waitcnt lgkmcnt(0)
	v_mad_u64_u32 v[0:1], s[6:7], s2, v124, 0
	v_mad_u64_u32 v[2:3], s[6:7], s0, v126, 0
	s_mul_hi_u32 s6, s0, 0xf30
	s_mulk_i32 s0, 0xf30
	v_mad_u64_u32 v[4:5], s[2:3], s3, v124, v[1:2]
	s_mov_b32 s17, 0x3fd3c6ef
	s_mov_b32 s21, 0xbfe2cf23
	v_mad_u64_u32 v[5:6], s[2:3], s1, v126, v[3:4]
	v_mov_b32_e32 v1, v4
	v_lshlrev_b64 v[0:1], 4, v[0:1]
	v_mov_b32_e32 v6, s19
	v_mov_b32_e32 v3, v5
	v_add_co_u32_e32 v4, vcc, s18, v0
	v_addc_co_u32_e32 v5, vcc, v6, v1, vcc
	v_lshlrev_b64 v[0:1], 4, v[2:3]
	v_mov_b32_e32 v2, s9
	v_add_co_u32_e32 v0, vcc, v4, v0
	v_add_co_u32_e64 v127, s[2:3], s8, v125
	s_mulk_i32 s1, 0xf30
	v_addc_co_u32_e32 v1, vcc, v5, v1, vcc
	v_addc_co_u32_e64 v14, vcc, 0, v2, s[2:3]
	s_add_i32 s1, s6, s1
	v_mov_b32_e32 v3, s1
	v_add_co_u32_e32 v2, vcc, s0, v0
	v_addc_co_u32_e32 v3, vcc, v1, v3, vcc
	global_load_dwordx4 v[20:23], v[0:1], off
	global_load_dwordx4 v[24:27], v[2:3], off
	global_load_dwordx4 v[16:19], v125, s[8:9]
	global_load_dwordx4 v[8:11], v125, s[8:9] offset:3888
	v_mov_b32_e32 v1, s1
	v_add_co_u32_e32 v0, vcc, s0, v2
	v_addc_co_u32_e32 v1, vcc, v3, v1, vcc
	s_movk_i32 s6, 0x1000
	v_add_co_u32_e32 v2, vcc, s6, v127
	v_addc_co_u32_e32 v3, vcc, 0, v14, vcc
	global_load_dwordx4 v[4:7], v[2:3], off offset:3680
	v_mov_b32_e32 v2, s1
	v_add_co_u32_e32 v12, vcc, s0, v0
	v_addc_co_u32_e32 v13, vcc, v1, v2, vcc
	s_movk_i32 s6, 0x2000
	global_load_dwordx4 v[28:31], v[0:1], off
	v_add_co_u32_e32 v0, vcc, s6, v127
	v_addc_co_u32_e32 v1, vcc, 0, v14, vcc
	v_mov_b32_e32 v15, s1
	v_add_co_u32_e32 v40, vcc, s0, v12
	v_addc_co_u32_e32 v41, vcc, v13, v15, vcc
	s_movk_i32 s0, 0x3000
	v_add_co_u32_e32 v42, vcc, s0, v127
	global_load_dwordx4 v[32:35], v[12:13], off
	v_addc_co_u32_e32 v43, vcc, 0, v14, vcc
	global_load_dwordx4 v[0:3], v[0:1], off offset:3472
	s_nop 0
	global_load_dwordx4 v[12:15], v[42:43], off offset:3264
	global_load_dwordx4 v[36:39], v[40:41], off
	s_load_dwordx4 s[4:7], s[14:15], 0x0
	s_mov_b32 s18, 0x134454ff
	s_mov_b32 s19, 0x3fee6f0e
	;; [unrolled: 1-line block ×6, first 2 shown]
	s_waitcnt vmcnt(7)
	v_mul_f64 v[40:41], v[22:23], v[18:19]
	v_mul_f64 v[42:43], v[20:21], v[18:19]
	s_waitcnt vmcnt(6)
	v_mul_f64 v[44:45], v[26:27], v[10:11]
	v_mul_f64 v[46:47], v[24:25], v[10:11]
	v_fma_f64 v[20:21], v[20:21], v[16:17], v[40:41]
	v_fma_f64 v[22:23], v[22:23], v[16:17], -v[42:43]
	v_fma_f64 v[24:25], v[24:25], v[8:9], v[44:45]
	v_fma_f64 v[26:27], v[26:27], v[8:9], -v[46:47]
	s_waitcnt vmcnt(4)
	v_mul_f64 v[48:49], v[30:31], v[6:7]
	v_mul_f64 v[50:51], v[28:29], v[6:7]
	v_fma_f64 v[28:29], v[28:29], v[4:5], v[48:49]
	v_fma_f64 v[30:31], v[30:31], v[4:5], -v[50:51]
	s_waitcnt vmcnt(2)
	v_mul_f64 v[52:53], v[34:35], v[2:3]
	v_mul_f64 v[54:55], v[32:33], v[2:3]
	s_waitcnt vmcnt(0)
	v_mul_f64 v[56:57], v[38:39], v[14:15]
	v_mul_f64 v[58:59], v[36:37], v[14:15]
	v_fma_f64 v[32:33], v[32:33], v[0:1], v[52:53]
	v_fma_f64 v[34:35], v[34:35], v[0:1], -v[54:55]
	v_fma_f64 v[36:37], v[36:37], v[12:13], v[56:57]
	v_fma_f64 v[38:39], v[38:39], v[12:13], -v[58:59]
	ds_write_b128 v125, v[20:23]
	ds_write_b128 v125, v[24:27] offset:3888
	ds_write_b128 v125, v[28:31] offset:7776
	;; [unrolled: 1-line block ×4, first 2 shown]
	s_waitcnt lgkmcnt(0)
	s_barrier
	ds_read_b128 v[20:23], v125 offset:7776
	ds_read_b128 v[24:27], v125 offset:11664
	ds_read_b128 v[28:31], v125
	ds_read_b128 v[32:35], v125 offset:3888
	ds_read_b128 v[36:39], v125 offset:15552
	s_waitcnt lgkmcnt(0)
	v_add_f64 v[40:41], v[20:21], v[24:25]
	v_add_f64 v[46:47], v[22:23], -v[26:27]
	v_add_f64 v[42:43], v[28:29], v[32:33]
	v_add_f64 v[44:45], v[34:35], -v[38:39]
	v_add_f64 v[52:53], v[32:33], v[36:37]
	v_add_f64 v[48:49], v[32:33], -v[20:21]
	v_add_f64 v[50:51], v[36:37], -v[24:25]
	v_add_f64 v[54:55], v[20:21], -v[32:33]
	v_fma_f64 v[40:41], v[40:41], -0.5, v[28:29]
	v_add_f64 v[56:57], v[24:25], -v[36:37]
	v_add_f64 v[60:61], v[22:23], v[26:27]
	v_add_f64 v[42:43], v[42:43], v[20:21]
	v_add_f64 v[62:63], v[20:21], -v[24:25]
	v_fma_f64 v[20:21], v[52:53], -0.5, v[28:29]
	v_add_f64 v[52:53], v[34:35], v[38:39]
	v_add_f64 v[58:59], v[30:31], v[34:35]
	v_fma_f64 v[28:29], v[44:45], s[18:19], v[40:41]
	v_add_f64 v[32:33], v[32:33], -v[36:37]
	v_add_f64 v[48:49], v[48:49], v[50:51]
	v_add_f64 v[50:51], v[54:55], v[56:57]
	v_fma_f64 v[54:55], v[60:61], -0.5, v[30:31]
	v_add_f64 v[24:25], v[42:43], v[24:25]
	v_fma_f64 v[40:41], v[44:45], s[22:23], v[40:41]
	v_fma_f64 v[42:43], v[46:47], s[22:23], v[20:21]
	;; [unrolled: 1-line block ×3, first 2 shown]
	v_fma_f64 v[30:31], v[52:53], -0.5, v[30:31]
	v_add_f64 v[56:57], v[58:59], v[22:23]
	v_fma_f64 v[52:53], v[46:47], s[18:19], v[20:21]
	v_fma_f64 v[58:59], v[32:33], s[22:23], v[54:55]
	v_add_f64 v[20:21], v[24:25], v[36:37]
	v_fma_f64 v[36:37], v[46:47], s[20:21], v[40:41]
	v_fma_f64 v[40:41], v[44:45], s[0:1], v[42:43]
	;; [unrolled: 1-line block ×3, first 2 shown]
	v_add_f64 v[28:29], v[34:35], -v[22:23]
	v_add_f64 v[42:43], v[38:39], -v[26:27]
	v_fma_f64 v[46:47], v[32:33], s[18:19], v[54:55]
	v_fma_f64 v[54:55], v[62:63], s[18:19], v[30:31]
	v_add_f64 v[22:23], v[22:23], -v[34:35]
	v_add_f64 v[34:35], v[26:27], -v[38:39]
	v_fma_f64 v[30:31], v[62:63], s[22:23], v[30:31]
	v_add_f64 v[26:27], v[56:57], v[26:27]
	v_fma_f64 v[56:57], v[62:63], s[20:21], v[58:59]
	v_add_f64 v[42:43], v[28:29], v[42:43]
	v_fma_f64 v[52:53], v[44:45], s[20:21], v[52:53]
	v_fma_f64 v[54:55], v[32:33], s[20:21], v[54:55]
	;; [unrolled: 1-line block ×3, first 2 shown]
	v_add_f64 v[34:35], v[22:23], v[34:35]
	v_fma_f64 v[32:33], v[32:33], s[0:1], v[30:31]
	v_add_f64 v[22:23], v[26:27], v[38:39]
	v_fma_f64 v[28:29], v[50:51], s[16:17], v[40:41]
	v_fma_f64 v[26:27], v[42:43], s[16:17], v[56:57]
	;; [unrolled: 1-line block ×7, first 2 shown]
	v_mul_lo_u16_e32 v32, 5, v126
	v_lshlrev_b32_e32 v128, 4, v32
	s_barrier
	ds_write_b128 v128, v[20:23]
	ds_write_b128 v128, v[24:27] offset:16
	ds_write_b128 v128, v[28:31] offset:32
	;; [unrolled: 1-line block ×4, first 2 shown]
	s_waitcnt lgkmcnt(0)
	s_barrier
	ds_read_b128 v[40:43], v125
	ds_read_b128 v[32:35], v125 offset:6480
	ds_read_b128 v[28:31], v125 offset:12960
	s_movk_i32 s0, 0xa2
	v_cmp_gt_u16_e64 s[0:1], s0, v126
                                        ; implicit-def: $vgpr48_vgpr49
	s_and_saveexec_b64 s[14:15], s[0:1]
	s_cbranch_execz .LBB0_3
; %bb.2:
	ds_read_b128 v[36:39], v125 offset:3888
	ds_read_b128 v[44:47], v125 offset:10368
	;; [unrolled: 1-line block ×3, first 2 shown]
.LBB0_3:
	s_or_b64 exec, exec, s[14:15]
	s_movk_i32 s8, 0xcd
	v_mul_lo_u16_sdwa v20, v126, s8 dst_sel:DWORD dst_unused:UNUSED_PAD src0_sel:BYTE_0 src1_sel:DWORD
	v_lshrrev_b16_e32 v70, 10, v20
	v_mul_lo_u16_e32 v20, 5, v70
	v_sub_u16_e32 v20, v126, v20
	v_and_b32_e32 v71, 0xff, v20
	v_lshlrev_b32_e32 v52, 5, v71
	global_load_dwordx4 v[20:23], v52, s[10:11] offset:16
	global_load_dwordx4 v[24:27], v52, s[10:11]
	v_add_co_u32_e32 v139, vcc, 0xf3, v126
	s_mov_b32 s8, 0xcccd
	v_addc_co_u32_e64 v140, s[14:15], 0, 0, vcc
	s_mov_b32 s14, 0xe8584caa
	s_mov_b32 s15, 0x3febb67a
	;; [unrolled: 1-line block ×4, first 2 shown]
	s_waitcnt vmcnt(0) lgkmcnt(1)
	v_mul_f64 v[52:53], v[34:35], v[26:27]
	v_fma_f64 v[52:53], v[32:33], v[24:25], -v[52:53]
	v_mul_f64 v[32:33], v[32:33], v[26:27]
	v_fma_f64 v[54:55], v[34:35], v[24:25], v[32:33]
	s_waitcnt lgkmcnt(0)
	v_mul_f64 v[32:33], v[30:31], v[22:23]
	v_fma_f64 v[56:57], v[28:29], v[20:21], -v[32:33]
	v_mul_f64 v[28:29], v[28:29], v[22:23]
	v_fma_f64 v[58:59], v[30:31], v[20:21], v[28:29]
	v_mul_u32_u24_sdwa v28, v139, s8 dst_sel:DWORD dst_unused:UNUSED_PAD src0_sel:WORD_0 src1_sel:DWORD
	v_lshrrev_b32_e32 v72, 18, v28
	v_mul_lo_u16_e32 v28, 5, v72
	v_sub_u16_e32 v73, v139, v28
	v_lshlrev_b16_e32 v28, 1, v73
	v_lshlrev_b32_e32 v60, 4, v28
	global_load_dwordx4 v[28:31], v60, s[10:11] offset:16
	global_load_dwordx4 v[32:35], v60, s[10:11]
	v_mad_legacy_u16 v130, v72, 15, v73
	s_waitcnt vmcnt(0)
	s_barrier
	v_mul_f64 v[60:61], v[46:47], v[34:35]
	v_fma_f64 v[62:63], v[44:45], v[32:33], -v[60:61]
	v_mul_f64 v[44:45], v[44:45], v[34:35]
	v_fma_f64 v[64:65], v[46:47], v[32:33], v[44:45]
	v_mul_f64 v[44:45], v[50:51], v[30:31]
	v_add_f64 v[46:47], v[52:53], v[56:57]
	v_fma_f64 v[66:67], v[48:49], v[28:29], -v[44:45]
	v_mul_f64 v[44:45], v[48:49], v[30:31]
	v_fma_f64 v[46:47], v[46:47], -0.5, v[40:41]
	v_add_f64 v[48:49], v[54:55], -v[58:59]
	v_fma_f64 v[68:69], v[50:51], v[28:29], v[44:45]
	v_add_f64 v[50:51], v[54:55], v[58:59]
	v_add_f64 v[44:45], v[40:41], v[52:53]
	v_fma_f64 v[40:41], v[48:49], s[14:15], v[46:47]
	v_fma_f64 v[48:49], v[48:49], s[16:17], v[46:47]
	v_add_f64 v[46:47], v[42:43], v[54:55]
	v_add_f64 v[52:53], v[52:53], -v[56:57]
	v_add_f64 v[54:55], v[62:63], v[66:67]
	v_fma_f64 v[50:51], v[50:51], -0.5, v[42:43]
	v_add_f64 v[44:45], v[44:45], v[56:57]
	v_add_f64 v[46:47], v[46:47], v[58:59]
	v_fma_f64 v[42:43], v[52:53], s[16:17], v[50:51]
	v_fma_f64 v[50:51], v[52:53], s[14:15], v[50:51]
	v_add_f64 v[52:53], v[36:37], v[62:63]
	v_fma_f64 v[36:37], v[54:55], -0.5, v[36:37]
	v_add_f64 v[54:55], v[64:65], -v[68:69]
	v_add_f64 v[52:53], v[52:53], v[66:67]
	v_fma_f64 v[56:57], v[54:55], s[14:15], v[36:37]
	v_fma_f64 v[60:61], v[54:55], s[16:17], v[36:37]
	v_add_f64 v[36:37], v[38:39], v[64:65]
	v_add_f64 v[54:55], v[36:37], v[68:69]
	;; [unrolled: 1-line block ×3, first 2 shown]
	v_fma_f64 v[36:37], v[36:37], -0.5, v[38:39]
	v_add_f64 v[38:39], v[62:63], -v[66:67]
	v_fma_f64 v[58:59], v[38:39], s[16:17], v[36:37]
	v_fma_f64 v[62:63], v[38:39], s[14:15], v[36:37]
	v_mul_u32_u24_e32 v36, 15, v70
	v_add_lshl_u32 v129, v36, v71, 4
	ds_write_b128 v129, v[44:47]
	ds_write_b128 v129, v[40:43] offset:80
	ds_write_b128 v129, v[48:51] offset:160
	s_and_saveexec_b64 s[14:15], s[0:1]
	s_cbranch_execz .LBB0_5
; %bb.4:
	v_lshlrev_b32_e32 v36, 4, v130
	ds_write_b128 v36, v[52:55]
	ds_write_b128 v36, v[56:59] offset:80
	ds_write_b128 v36, v[60:63] offset:160
.LBB0_5:
	s_or_b64 exec, exec, s[14:15]
	s_waitcnt lgkmcnt(0)
	s_barrier
	ds_read_b128 v[64:67], v125
	ds_read_b128 v[72:75], v125 offset:6480
	ds_read_b128 v[68:71], v125 offset:12960
	s_and_saveexec_b64 s[14:15], s[0:1]
	s_cbranch_execz .LBB0_7
; %bb.6:
	ds_read_b128 v[52:55], v125 offset:3888
	ds_read_b128 v[56:59], v125 offset:10368
	;; [unrolled: 1-line block ×3, first 2 shown]
.LBB0_7:
	s_or_b64 exec, exec, s[14:15]
	s_movk_i32 s8, 0x89
	v_mul_lo_u16_sdwa v36, v126, s8 dst_sel:DWORD dst_unused:UNUSED_PAD src0_sel:BYTE_0 src1_sel:DWORD
	v_lshrrev_b16_e32 v78, 11, v36
	v_mul_lo_u16_e32 v36, 15, v78
	v_sub_u16_e32 v36, v126, v36
	v_and_b32_e32 v92, 0xff, v36
	v_lshlrev_b32_e32 v44, 5, v92
	s_mov_b32 s8, 0x8889
	global_load_dwordx4 v[36:39], v44, s[10:11] offset:176
	global_load_dwordx4 v[40:43], v44, s[10:11] offset:160
	v_mul_u32_u24_sdwa v44, v139, s8 dst_sel:DWORD dst_unused:UNUSED_PAD src0_sel:WORD_0 src1_sel:DWORD
	v_lshrrev_b32_e32 v96, 19, v44
	v_mul_lo_u16_e32 v44, 15, v96
	v_sub_u16_e32 v97, v139, v44
	v_lshlrev_b16_e32 v44, 5, v97
	v_mov_b32_e32 v45, s11
	v_add_co_u32_e32 v76, vcc, s10, v44
	v_addc_co_u32_e32 v77, vcc, 0, v45, vcc
	global_load_dwordx4 v[48:51], v[76:77], off offset:160
	global_load_dwordx4 v[44:47], v[76:77], off offset:176
	v_mul_u32_u24_e32 v93, 45, v78
	v_add_lshl_u32 v133, v93, v92, 4
	s_mov_b32 s14, 0xe8584caa
	s_mov_b32 s15, 0x3febb67a
	;; [unrolled: 1-line block ×3, first 2 shown]
	v_mad_legacy_u16 v134, v96, 45, v97
	s_waitcnt vmcnt(0) lgkmcnt(0)
	s_barrier
	v_mul_f64 v[80:81], v[70:71], v[38:39]
	v_mul_f64 v[76:77], v[74:75], v[42:43]
	;; [unrolled: 1-line block ×4, first 2 shown]
	v_fma_f64 v[68:69], v[68:69], v[36:37], -v[80:81]
	v_fma_f64 v[72:73], v[72:73], v[40:41], -v[76:77]
	v_fma_f64 v[74:75], v[74:75], v[40:41], v[78:79]
	v_mul_f64 v[84:85], v[58:59], v[50:51]
	v_mul_f64 v[86:87], v[56:57], v[50:51]
	;; [unrolled: 1-line block ×4, first 2 shown]
	v_fma_f64 v[70:71], v[70:71], v[36:37], v[82:83]
	v_add_f64 v[78:79], v[72:73], v[68:69]
	v_add_f64 v[82:83], v[66:67], v[74:75]
	v_fma_f64 v[56:57], v[56:57], v[48:49], -v[84:85]
	v_fma_f64 v[58:59], v[58:59], v[48:49], v[86:87]
	v_fma_f64 v[60:61], v[60:61], v[44:45], -v[88:89]
	v_fma_f64 v[62:63], v[62:63], v[44:45], v[90:91]
	v_add_f64 v[80:81], v[74:75], -v[70:71]
	v_add_f64 v[74:75], v[74:75], v[70:71]
	v_add_f64 v[76:77], v[64:65], v[72:73]
	v_add_f64 v[72:73], v[72:73], -v[68:69]
	v_add_f64 v[84:85], v[52:53], v[56:57]
	v_add_f64 v[90:91], v[54:55], v[58:59]
	;; [unrolled: 1-line block ×4, first 2 shown]
	v_add_f64 v[88:89], v[58:59], -v[62:63]
	v_add_f64 v[94:95], v[56:57], -v[60:61]
	v_fma_f64 v[64:65], v[78:79], -0.5, v[64:65]
	v_fma_f64 v[66:67], v[74:75], -0.5, v[66:67]
	v_add_f64 v[56:57], v[76:77], v[68:69]
	v_add_f64 v[58:59], v[82:83], v[70:71]
	v_fma_f64 v[74:75], v[86:87], -0.5, v[52:53]
	v_fma_f64 v[78:79], v[92:93], -0.5, v[54:55]
	v_add_f64 v[68:69], v[84:85], v[60:61]
	v_add_f64 v[70:71], v[90:91], v[62:63]
	v_fma_f64 v[52:53], v[80:81], s[14:15], v[64:65]
	v_fma_f64 v[54:55], v[72:73], s[16:17], v[66:67]
	;; [unrolled: 1-line block ×8, first 2 shown]
	ds_write_b128 v133, v[56:59]
	ds_write_b128 v133, v[52:55] offset:240
	ds_write_b128 v133, v[60:63] offset:480
	s_and_saveexec_b64 s[14:15], s[0:1]
	s_cbranch_execz .LBB0_9
; %bb.8:
	v_lshlrev_b32_e32 v52, 4, v134
	ds_write_b128 v52, v[68:71]
	ds_write_b128 v52, v[72:75] offset:240
	ds_write_b128 v52, v[76:79] offset:480
.LBB0_9:
	s_or_b64 exec, exec, s[14:15]
	s_waitcnt lgkmcnt(0)
	s_barrier
	ds_read_b128 v[80:83], v125
	ds_read_b128 v[88:91], v125 offset:6480
	ds_read_b128 v[84:87], v125 offset:12960
	s_and_saveexec_b64 s[14:15], s[0:1]
	s_cbranch_execz .LBB0_11
; %bb.10:
	ds_read_b128 v[68:71], v125 offset:3888
	ds_read_b128 v[72:75], v125 offset:10368
	;; [unrolled: 1-line block ×3, first 2 shown]
.LBB0_11:
	s_or_b64 exec, exec, s[14:15]
	s_movk_i32 s8, 0x6d
	v_mul_lo_u16_sdwa v52, v126, s8 dst_sel:DWORD dst_unused:UNUSED_PAD src0_sel:BYTE_0 src1_sel:DWORD
	v_sub_u16_sdwa v53, v126, v52 dst_sel:DWORD dst_unused:UNUSED_PAD src0_sel:DWORD src1_sel:BYTE_1
	v_lshrrev_b16_e32 v53, 1, v53
	v_and_b32_e32 v53, 0x7f, v53
	v_add_u16_sdwa v52, v53, v52 dst_sel:DWORD dst_unused:UNUSED_PAD src0_sel:DWORD src1_sel:BYTE_1
	s_movk_i32 s8, 0x2d83
	v_lshrrev_b16_e32 v108, 5, v52
	v_mul_u32_u24_sdwa v52, v139, s8 dst_sel:DWORD dst_unused:UNUSED_PAD src0_sel:WORD_0 src1_sel:DWORD
	v_lshrrev_b32_e32 v131, 19, v52
	v_mul_lo_u16_e32 v52, 45, v131
	v_sub_u16_e32 v132, v139, v52
	v_lshlrev_b16_e32 v52, 5, v132
	v_mov_b32_e32 v53, s11
	v_add_co_u32_e32 v60, vcc, s10, v52
	v_mul_lo_u16_e32 v62, 45, v108
	v_addc_co_u32_e32 v61, vcc, 0, v53, vcc
	global_load_dwordx4 v[52:55], v[60:61], off offset:656
	global_load_dwordx4 v[56:59], v[60:61], off offset:640
	v_sub_u16_e32 v60, v126, v62
	v_and_b32_e32 v114, 0xff, v60
	v_lshlrev_b32_e32 v92, 5, v114
	global_load_dwordx4 v[64:67], v92, s[10:11] offset:640
	global_load_dwordx4 v[60:63], v92, s[10:11] offset:656
	v_mul_u32_u24_e32 v115, 0x87, v108
	s_mov_b32 s14, 0xe8584caa
	s_mov_b32 s15, 0x3febb67a
	;; [unrolled: 1-line block ×3, first 2 shown]
	s_movk_i32 s8, 0x87
	v_add_lshl_u32 v137, v115, v114, 4
	s_waitcnt vmcnt(0) lgkmcnt(0)
	s_barrier
	v_mul_f64 v[96:97], v[78:79], v[54:55]
	v_mul_f64 v[92:93], v[74:75], v[58:59]
	;; [unrolled: 1-line block ×8, first 2 shown]
	v_fma_f64 v[76:77], v[76:77], v[52:53], -v[96:97]
	v_fma_f64 v[72:73], v[72:73], v[56:57], -v[92:93]
	v_fma_f64 v[74:75], v[74:75], v[56:57], v[94:95]
	v_fma_f64 v[78:79], v[78:79], v[52:53], v[98:99]
	v_fma_f64 v[88:89], v[88:89], v[64:65], -v[100:101]
	v_fma_f64 v[90:91], v[90:91], v[64:65], v[102:103]
	v_fma_f64 v[92:93], v[84:85], v[60:61], -v[104:105]
	v_fma_f64 v[94:95], v[86:87], v[60:61], v[106:107]
	v_add_f64 v[86:87], v[72:73], v[76:77]
	v_add_f64 v[98:99], v[70:71], v[74:75]
	v_add_f64 v[96:97], v[74:75], -v[78:79]
	v_add_f64 v[74:75], v[74:75], v[78:79]
	v_add_f64 v[84:85], v[68:69], v[72:73]
	;; [unrolled: 1-line block ×4, first 2 shown]
	v_add_f64 v[100:101], v[72:73], -v[76:77]
	v_add_f64 v[72:73], v[80:81], v[88:89]
	v_add_f64 v[104:105], v[90:91], -v[94:95]
	v_add_f64 v[90:91], v[82:83], v[90:91]
	v_fma_f64 v[110:111], v[86:87], -0.5, v[68:69]
	v_fma_f64 v[112:113], v[74:75], -0.5, v[70:71]
	v_add_f64 v[108:109], v[88:89], -v[92:93]
	v_fma_f64 v[74:75], v[102:103], -0.5, v[80:81]
	v_add_f64 v[86:87], v[98:99], v[78:79]
	v_fma_f64 v[78:79], v[106:107], -0.5, v[82:83]
	v_add_f64 v[84:85], v[84:85], v[76:77]
	v_add_f64 v[68:69], v[72:73], v[92:93]
	;; [unrolled: 1-line block ×3, first 2 shown]
	v_fma_f64 v[88:89], v[96:97], s[14:15], v[110:111]
	v_fma_f64 v[92:93], v[96:97], s[16:17], v[110:111]
	;; [unrolled: 1-line block ×8, first 2 shown]
	ds_write_b128 v137, v[68:71]
	ds_write_b128 v137, v[72:75] offset:720
	ds_write_b128 v137, v[76:79] offset:1440
	s_and_saveexec_b64 s[14:15], s[0:1]
	s_cbranch_execz .LBB0_13
; %bb.12:
	v_mad_legacy_u16 v68, v131, s8, v132
	v_lshlrev_b32_e32 v68, 4, v68
	ds_write_b128 v68, v[84:87]
	ds_write_b128 v68, v[88:91] offset:720
	ds_write_b128 v68, v[92:95] offset:1440
.LBB0_13:
	s_or_b64 exec, exec, s[14:15]
	s_waitcnt lgkmcnt(0)
	s_barrier
	ds_read_b128 v[96:99], v125
	ds_read_b128 v[104:107], v125 offset:6480
	ds_read_b128 v[100:103], v125 offset:12960
	s_and_saveexec_b64 s[14:15], s[0:1]
	s_cbranch_execz .LBB0_15
; %bb.14:
	ds_read_b128 v[84:87], v125 offset:3888
	ds_read_b128 v[88:91], v125 offset:10368
	;; [unrolled: 1-line block ×3, first 2 shown]
.LBB0_15:
	s_or_b64 exec, exec, s[14:15]
	s_movk_i32 s8, 0xff79
	v_add_co_u32_e32 v68, vcc, s8, v126
	s_movk_i32 s8, 0x87
	v_addc_co_u32_e64 v69, s[14:15], 0, -1, vcc
	v_cmp_gt_u16_e32 vcc, s8, v126
	v_cndmask_b32_e64 v109, v69, 0, vcc
	v_cndmask_b32_e32 v108, v68, v126, vcc
	v_lshlrev_b64 v[68:69], 5, v[108:109]
	v_mov_b32_e32 v78, s11
	v_add_co_u32_e32 v76, vcc, s10, v68
	v_addc_co_u32_e32 v77, vcc, v78, v69, vcc
	s_movk_i32 s8, 0x795d
	global_load_dwordx4 v[68:71], v[76:77], off offset:2096
	global_load_dwordx4 v[72:75], v[76:77], off offset:2080
	v_mul_u32_u24_sdwa v76, v139, s8 dst_sel:DWORD dst_unused:UNUSED_PAD src0_sel:WORD_0 src1_sel:DWORD
	v_lshrrev_b32_e32 v135, 22, v76
	v_mul_lo_u16_e32 v76, 0x87, v135
	v_sub_u16_e32 v136, v139, v76
	v_lshlrev_b16_e32 v76, 5, v136
	v_add_co_u32_e32 v109, vcc, s10, v76
	v_addc_co_u32_e32 v110, vcc, 0, v78, vcc
	global_load_dwordx4 v[80:83], v[109:110], off offset:2080
	global_load_dwordx4 v[76:79], v[109:110], off offset:2096
	s_mov_b32 s14, 0xe8584caa
	s_mov_b32 s15, 0x3febb67a
	;; [unrolled: 1-line block ×3, first 2 shown]
	s_movk_i32 s18, 0x86
	v_mov_b32_e32 v123, 0x195
	v_cmp_lt_u16_e32 vcc, s18, v126
	v_cndmask_b32_e32 v123, 0, v123, vcc
	s_movk_i32 s8, 0x195
	v_add_lshl_u32 v138, v108, v123, 4
	s_waitcnt vmcnt(0) lgkmcnt(0)
	s_barrier
	v_mul_f64 v[113:114], v[102:103], v[70:71]
	v_mul_f64 v[109:110], v[106:107], v[74:75]
	;; [unrolled: 1-line block ×4, first 2 shown]
	v_fma_f64 v[100:101], v[100:101], v[68:69], -v[113:114]
	v_fma_f64 v[104:105], v[104:105], v[72:73], -v[109:110]
	v_mul_f64 v[117:118], v[90:91], v[82:83]
	v_mul_f64 v[119:120], v[88:89], v[82:83]
	;; [unrolled: 1-line block ×4, first 2 shown]
	v_fma_f64 v[106:107], v[106:107], v[72:73], v[111:112]
	v_fma_f64 v[102:103], v[102:103], v[68:69], v[115:116]
	v_add_f64 v[109:110], v[96:97], v[104:105]
	v_fma_f64 v[88:89], v[88:89], v[80:81], -v[117:118]
	v_fma_f64 v[90:91], v[90:91], v[80:81], v[119:120]
	v_fma_f64 v[92:93], v[92:93], v[76:77], -v[121:122]
	v_fma_f64 v[94:95], v[94:95], v[76:77], v[141:142]
	v_add_f64 v[111:112], v[104:105], v[100:101]
	v_add_f64 v[115:116], v[98:99], v[106:107]
	v_add_f64 v[113:114], v[106:107], -v[102:103]
	v_add_f64 v[106:107], v[106:107], v[102:103]
	v_add_f64 v[117:118], v[104:105], -v[100:101]
	v_add_f64 v[104:105], v[84:85], v[88:89]
	v_add_f64 v[119:120], v[88:89], v[92:93]
	;; [unrolled: 1-line block ×3, first 2 shown]
	v_add_f64 v[121:122], v[90:91], -v[94:95]
	v_add_f64 v[141:142], v[86:87], v[90:91]
	v_add_f64 v[145:146], v[88:89], -v[92:93]
	v_fma_f64 v[96:97], v[111:112], -0.5, v[96:97]
	v_add_f64 v[88:89], v[109:110], v[100:101]
	v_add_f64 v[90:91], v[115:116], v[102:103]
	v_fma_f64 v[102:103], v[119:120], -0.5, v[84:85]
	v_fma_f64 v[109:110], v[143:144], -0.5, v[86:87]
	;; [unrolled: 1-line block ×3, first 2 shown]
	v_add_f64 v[104:105], v[104:105], v[92:93]
	v_add_f64 v[106:107], v[141:142], v[94:95]
	v_fma_f64 v[84:85], v[113:114], s[14:15], v[96:97]
	v_fma_f64 v[92:93], v[113:114], s[16:17], v[96:97]
	;; [unrolled: 1-line block ×8, first 2 shown]
	ds_write_b128 v138, v[88:91]
	ds_write_b128 v138, v[84:87] offset:2160
	ds_write_b128 v138, v[92:95] offset:4320
	s_and_saveexec_b64 s[14:15], s[0:1]
	s_cbranch_execz .LBB0_17
; %bb.16:
	v_mad_legacy_u16 v84, v135, s8, v136
	v_lshlrev_b32_e32 v84, 4, v84
	ds_write_b128 v84, v[104:107]
	ds_write_b128 v84, v[100:103] offset:2160
	ds_write_b128 v84, v[112:115] offset:4320
.LBB0_17:
	s_or_b64 exec, exec, s[14:15]
	s_waitcnt lgkmcnt(0)
	s_barrier
	ds_read_b128 v[108:111], v125
	ds_read_b128 v[120:123], v125 offset:6480
	ds_read_b128 v[116:119], v125 offset:12960
	s_and_saveexec_b64 s[14:15], s[0:1]
	s_cbranch_execz .LBB0_19
; %bb.18:
	ds_read_b128 v[104:107], v125 offset:3888
	ds_read_b128 v[100:103], v125 offset:10368
	;; [unrolled: 1-line block ×3, first 2 shown]
.LBB0_19:
	s_or_b64 exec, exec, s[14:15]
	v_lshlrev_b32_e32 v84, 5, v126
	v_mov_b32_e32 v88, s11
	v_add_co_u32_e32 v86, vcc, s10, v84
	v_addc_co_u32_e32 v87, vcc, 0, v88, vcc
	s_movk_i32 s8, 0x1900
	v_add_co_u32_e32 v84, vcc, s8, v86
	v_addc_co_u32_e32 v85, vcc, 0, v87, vcc
	s_movk_i32 s11, 0x1000
	;; [unrolled: 3-line block ×3, first 2 shown]
	global_load_dwordx4 v[92:95], v[86:87], off offset:2304
	global_load_dwordx4 v[96:99], v[84:85], off offset:16
	v_add_co_u32_e32 v84, vcc, s14, v126
	v_addc_co_u32_e64 v85, s[14:15], 0, -1, vcc
	v_cndmask_b32_e64 v85, v85, v140, s[0:1]
	v_cndmask_b32_e64 v84, v84, v139, s[0:1]
	v_lshlrev_b64 v[84:85], 5, v[84:85]
	s_mov_b32 s15, 0xbfebb67a
	v_add_co_u32_e32 v89, vcc, s10, v84
	v_addc_co_u32_e32 v90, vcc, v88, v85, vcc
	v_add_co_u32_e32 v84, vcc, s11, v89
	v_addc_co_u32_e32 v85, vcc, 0, v90, vcc
	;; [unrolled: 2-line block ×3, first 2 shown]
	global_load_dwordx4 v[84:87], v[84:85], off offset:2304
	s_mov_b32 s10, 0xe8584caa
	global_load_dwordx4 v[88:91], v[88:89], off offset:16
	s_mov_b32 s11, 0x3febb67a
	s_mov_b32 s14, s10
	s_waitcnt vmcnt(3) lgkmcnt(1)
	v_mul_f64 v[139:140], v[122:123], v[94:95]
	v_mul_f64 v[141:142], v[120:121], v[94:95]
	s_waitcnt vmcnt(2) lgkmcnt(0)
	v_mul_f64 v[143:144], v[118:119], v[98:99]
	v_mul_f64 v[145:146], v[116:117], v[98:99]
	v_fma_f64 v[120:121], v[120:121], v[92:93], -v[139:140]
	v_fma_f64 v[122:123], v[122:123], v[92:93], v[141:142]
	v_fma_f64 v[139:140], v[116:117], v[96:97], -v[143:144]
	v_fma_f64 v[141:142], v[118:119], v[96:97], v[145:146]
	v_add_f64 v[143:144], v[122:123], v[141:142]
	v_add_f64 v[145:146], v[122:123], -v[141:142]
	s_waitcnt vmcnt(1)
	v_mul_f64 v[147:148], v[102:103], v[86:87]
	v_mul_f64 v[149:150], v[100:101], v[86:87]
	s_waitcnt vmcnt(0)
	v_mul_f64 v[151:152], v[114:115], v[90:91]
	v_mul_f64 v[153:154], v[112:113], v[90:91]
	v_fma_f64 v[155:156], v[143:144], -0.5, v[110:111]
	v_fma_f64 v[116:117], v[100:101], v[84:85], -v[147:148]
	v_fma_f64 v[118:119], v[102:103], v[84:85], v[149:150]
	v_fma_f64 v[112:113], v[112:113], v[88:89], -v[151:152]
	v_fma_f64 v[114:115], v[114:115], v[88:89], v[153:154]
	v_add_f64 v[100:101], v[120:121], v[139:140]
	v_add_f64 v[102:103], v[108:109], v[120:121]
	;; [unrolled: 1-line block ×3, first 2 shown]
	v_add_f64 v[153:154], v[120:121], -v[139:140]
	v_add_f64 v[147:148], v[116:117], v[112:113]
	v_add_f64 v[149:150], v[118:119], v[114:115]
	v_fma_f64 v[100:101], v[100:101], -0.5, v[108:109]
	v_add_f64 v[120:121], v[118:119], -v[114:115]
	v_add_f64 v[122:123], v[116:117], -v[112:113]
	v_add_f64 v[139:140], v[102:103], v[139:140]
	v_add_f64 v[141:142], v[151:152], v[141:142]
	v_fma_f64 v[108:109], v[147:148], -0.5, v[104:105]
	v_fma_f64 v[110:111], v[149:150], -0.5, v[106:107]
	v_fma_f64 v[143:144], v[145:146], s[10:11], v[100:101]
	v_fma_f64 v[147:148], v[145:146], s[14:15], v[100:101]
	;; [unrolled: 1-line block ×4, first 2 shown]
	ds_write_b128 v125, v[139:142]
	ds_write_b128 v125, v[143:146] offset:6480
	ds_write_b128 v125, v[147:150] offset:12960
	v_fma_f64 v[100:101], v[120:121], s[14:15], v[108:109]
	v_fma_f64 v[102:103], v[122:123], s[10:11], v[110:111]
	s_and_saveexec_b64 s[14:15], s[0:1]
	s_cbranch_execz .LBB0_21
; %bb.20:
	v_add_f64 v[118:119], v[106:107], v[118:119]
	v_add_f64 v[104:105], v[104:105], v[116:117]
	v_mul_f64 v[122:123], v[122:123], s[10:11]
	v_mul_f64 v[116:117], v[120:121], s[10:11]
	v_add_f64 v[114:115], v[118:119], v[114:115]
	v_add_f64 v[112:113], v[104:105], v[112:113]
	v_add_f64 v[106:107], v[110:111], -v[122:123]
	v_add_f64 v[104:105], v[116:117], v[108:109]
	ds_write_b128 v125, v[112:115] offset:3888
	ds_write_b128 v125, v[104:107] offset:10368
	;; [unrolled: 1-line block ×3, first 2 shown]
.LBB0_21:
	s_or_b64 exec, exec, s[14:15]
	v_mov_b32_e32 v104, s9
	v_addc_co_u32_e64 v121, vcc, 0, v104, s[2:3]
	s_movk_i32 s2, 0x4bf0
	v_add_co_u32_e32 v120, vcc, s2, v127
	s_movk_i32 s8, 0x4000
	s_mov_b64 s[2:3], vcc
	v_add_co_u32_e32 v116, vcc, s8, v127
	v_addc_co_u32_e32 v117, vcc, 0, v121, vcc
	s_movk_i32 s8, 0x6000
	v_add_co_u32_e32 v104, vcc, s8, v127
	v_addc_co_u32_e32 v105, vcc, 0, v121, vcc
	s_movk_i32 s8, 0x7000
	v_add_co_u32_e32 v108, vcc, s8, v127
	v_addc_co_u32_e32 v109, vcc, 0, v121, vcc
	s_mov_b32 s8, 0x8000
	s_waitcnt lgkmcnt(0)
	s_barrier
	global_load_dwordx4 v[104:107], v[104:105], off offset:2640
	s_nop 0
	global_load_dwordx4 v[108:111], v[108:109], off offset:2432
	v_add_co_u32_e32 v112, vcc, s8, v127
	v_addc_co_u32_e32 v113, vcc, 0, v121, vcc
	global_load_dwordx4 v[112:115], v[112:113], off offset:2224
	s_nop 0
	global_load_dwordx4 v[116:119], v[116:117], off offset:3056
	v_addc_co_u32_e64 v121, vcc, 0, v121, s[2:3]
	global_load_dwordx4 v[120:123], v[120:121], off offset:3888
	ds_read_b128 v[139:142], v125
	ds_read_b128 v[143:146], v125 offset:3888
	ds_read_b128 v[147:150], v125 offset:7776
	;; [unrolled: 1-line block ×4, first 2 shown]
	s_mov_b32 s8, 0x134454ff
	s_mov_b32 s9, 0xbfee6f0e
	;; [unrolled: 1-line block ×10, first 2 shown]
	s_waitcnt vmcnt(4) lgkmcnt(2)
	v_mul_f64 v[159:160], v[149:150], v[106:107]
	v_mul_f64 v[106:107], v[147:148], v[106:107]
	s_waitcnt vmcnt(3) lgkmcnt(1)
	v_mul_f64 v[161:162], v[153:154], v[110:111]
	v_mul_f64 v[110:111], v[151:152], v[110:111]
	s_waitcnt vmcnt(2) lgkmcnt(0)
	v_mul_f64 v[163:164], v[157:158], v[114:115]
	v_mul_f64 v[114:115], v[155:156], v[114:115]
	s_waitcnt vmcnt(1)
	v_mul_f64 v[165:166], v[141:142], v[118:119]
	v_mul_f64 v[118:119], v[139:140], v[118:119]
	s_waitcnt vmcnt(0)
	v_mul_f64 v[167:168], v[145:146], v[122:123]
	v_mul_f64 v[122:123], v[143:144], v[122:123]
	v_fma_f64 v[147:148], v[147:148], v[104:105], -v[159:160]
	v_fma_f64 v[149:150], v[149:150], v[104:105], v[106:107]
	v_fma_f64 v[104:105], v[151:152], v[108:109], -v[161:162]
	v_fma_f64 v[106:107], v[153:154], v[108:109], v[110:111]
	v_fma_f64 v[108:109], v[155:156], v[112:113], -v[163:164]
	v_fma_f64 v[110:111], v[157:158], v[112:113], v[114:115]
	v_fma_f64 v[112:113], v[139:140], v[116:117], -v[165:166]
	v_fma_f64 v[114:115], v[141:142], v[116:117], v[118:119]
	v_fma_f64 v[116:117], v[143:144], v[120:121], -v[167:168]
	v_fma_f64 v[118:119], v[145:146], v[120:121], v[122:123]
	ds_write_b128 v125, v[147:150] offset:7776
	ds_write_b128 v125, v[104:107] offset:11664
	;; [unrolled: 1-line block ×3, first 2 shown]
	ds_write_b128 v125, v[112:115]
	ds_write_b128 v125, v[116:119] offset:3888
	s_waitcnt lgkmcnt(0)
	s_barrier
	ds_read_b128 v[104:107], v125
	ds_read_b128 v[108:111], v125 offset:3888
	ds_read_b128 v[112:115], v125 offset:7776
	;; [unrolled: 1-line block ×4, first 2 shown]
	s_waitcnt lgkmcnt(0)
	v_add_f64 v[139:140], v[104:105], v[108:109]
	v_add_f64 v[147:148], v[108:109], -v[112:113]
	v_add_f64 v[141:142], v[112:113], v[116:117]
	v_add_f64 v[149:150], v[120:121], -v[116:117]
	v_add_f64 v[157:158], v[106:107], v[110:111]
	v_add_f64 v[159:160], v[114:115], v[118:119]
	;; [unrolled: 1-line block ×4, first 2 shown]
	v_add_f64 v[143:144], v[110:111], -v[122:123]
	v_add_f64 v[145:146], v[114:115], -v[118:119]
	;; [unrolled: 1-line block ×10, first 2 shown]
	v_add_f64 v[112:113], v[139:140], v[112:113]
	v_fma_f64 v[139:140], v[141:142], -0.5, v[104:105]
	v_add_f64 v[141:142], v[147:148], v[149:150]
	v_add_f64 v[114:115], v[157:158], v[114:115]
	v_fma_f64 v[149:150], v[159:160], -0.5, v[106:107]
	v_fma_f64 v[104:105], v[151:152], -0.5, v[104:105]
	;; [unrolled: 1-line block ×3, first 2 shown]
	v_add_f64 v[147:148], v[153:154], v[155:156]
	v_add_f64 v[151:152], v[108:109], v[165:166]
	;; [unrolled: 1-line block ×4, first 2 shown]
	v_fma_f64 v[110:111], v[143:144], s[8:9], v[139:140]
	v_add_f64 v[114:115], v[114:115], v[118:119]
	v_fma_f64 v[118:119], v[161:162], s[16:17], v[149:150]
	v_fma_f64 v[112:113], v[143:144], s[16:17], v[139:140]
	;; [unrolled: 1-line block ×7, first 2 shown]
	v_add_f64 v[108:109], v[108:109], v[120:121]
	v_fma_f64 v[120:121], v[145:146], s[2:3], v[110:111]
	v_add_f64 v[110:111], v[114:115], v[122:123]
	v_fma_f64 v[114:115], v[163:164], s[14:15], v[118:119]
	v_fma_f64 v[112:113], v[145:146], s[14:15], v[112:113]
	;; [unrolled: 1-line block ×15, first 2 shown]
	s_barrier
	ds_write_b128 v128, v[108:111]
	ds_write_b128 v128, v[116:119] offset:16
	ds_write_b128 v128, v[120:123] offset:32
	;; [unrolled: 1-line block ×4, first 2 shown]
	s_waitcnt lgkmcnt(0)
	s_barrier
	ds_read_b128 v[108:111], v125
	ds_read_b128 v[116:119], v125 offset:6480
	ds_read_b128 v[120:123], v125 offset:12960
	s_and_saveexec_b64 s[2:3], s[0:1]
	s_cbranch_execz .LBB0_23
; %bb.22:
	ds_read_b128 v[104:107], v125 offset:3888
	ds_read_b128 v[112:115], v125 offset:10368
	;; [unrolled: 1-line block ×3, first 2 shown]
.LBB0_23:
	s_or_b64 exec, exec, s[2:3]
	s_waitcnt lgkmcnt(1)
	v_mul_f64 v[127:128], v[26:27], v[118:119]
	s_waitcnt lgkmcnt(0)
	v_mul_f64 v[139:140], v[22:23], v[122:123]
	v_mul_f64 v[26:27], v[26:27], v[116:117]
	;; [unrolled: 1-line block ×5, first 2 shown]
	s_mov_b32 s2, 0xe8584caa
	s_mov_b32 s3, 0xbfebb67a
	v_fma_f64 v[116:117], v[24:25], v[116:117], v[127:128]
	v_fma_f64 v[120:121], v[20:21], v[120:121], v[139:140]
	v_mul_f64 v[127:128], v[30:31], v[102:103]
	v_mul_f64 v[30:31], v[30:31], v[100:101]
	v_fma_f64 v[24:25], v[24:25], v[118:119], -v[26:27]
	v_fma_f64 v[20:21], v[20:21], v[122:123], -v[22:23]
	v_fma_f64 v[26:27], v[32:33], v[112:113], v[141:142]
	v_fma_f64 v[34:35], v[32:33], v[114:115], -v[34:35]
	s_mov_b32 s9, 0x3febb67a
	v_add_f64 v[22:23], v[116:117], v[120:121]
	v_fma_f64 v[112:113], v[28:29], v[100:101], v[127:128]
	v_fma_f64 v[30:31], v[28:29], v[102:103], -v[30:31]
	v_add_f64 v[28:29], v[108:109], v[116:117]
	v_add_f64 v[102:103], v[24:25], -v[20:21]
	v_add_f64 v[100:101], v[24:25], v[20:21]
	s_mov_b32 s8, s2
	v_add_f64 v[24:25], v[110:111], v[24:25]
	v_fma_f64 v[22:23], v[22:23], -0.5, v[108:109]
	v_add_f64 v[114:115], v[26:27], v[112:113]
	v_add_f64 v[118:119], v[34:35], v[30:31]
	v_add_f64 v[116:117], v[116:117], -v[120:121]
	v_add_f64 v[32:33], v[28:29], v[120:121]
	v_fma_f64 v[28:29], v[100:101], -0.5, v[110:111]
	v_add_f64 v[120:121], v[106:107], v[34:35]
	v_fma_f64 v[100:101], v[102:103], s[2:3], v[22:23]
	v_fma_f64 v[108:109], v[102:103], s[8:9], v[22:23]
	v_add_f64 v[22:23], v[104:105], v[26:27]
	v_fma_f64 v[104:105], v[114:115], -0.5, v[104:105]
	v_add_f64 v[114:115], v[34:35], -v[30:31]
	v_fma_f64 v[106:107], v[118:119], -0.5, v[106:107]
	v_add_f64 v[118:119], v[26:27], -v[112:113]
	v_add_f64 v[34:35], v[24:25], v[20:21]
	v_fma_f64 v[102:103], v[116:117], s[8:9], v[28:29]
	v_fma_f64 v[110:111], v[116:117], s[2:3], v[28:29]
	v_add_f64 v[20:21], v[22:23], v[112:113]
	v_add_f64 v[22:23], v[120:121], v[30:31]
	v_fma_f64 v[24:25], v[114:115], s[2:3], v[104:105]
	v_fma_f64 v[28:29], v[114:115], s[8:9], v[104:105]
	;; [unrolled: 1-line block ×4, first 2 shown]
	s_barrier
	ds_write_b128 v129, v[32:35]
	ds_write_b128 v129, v[100:103] offset:80
	ds_write_b128 v129, v[108:111] offset:160
	s_and_saveexec_b64 s[2:3], s[0:1]
	s_cbranch_execz .LBB0_25
; %bb.24:
	v_lshlrev_b32_e32 v32, 4, v130
	ds_write_b128 v32, v[20:23]
	ds_write_b128 v32, v[24:27] offset:80
	ds_write_b128 v32, v[28:31] offset:160
.LBB0_25:
	s_or_b64 exec, exec, s[2:3]
	s_waitcnt lgkmcnt(0)
	s_barrier
	ds_read_b128 v[32:35], v125
	ds_read_b128 v[100:103], v125 offset:6480
	ds_read_b128 v[104:107], v125 offset:12960
	s_and_saveexec_b64 s[2:3], s[0:1]
	s_cbranch_execz .LBB0_27
; %bb.26:
	ds_read_b128 v[20:23], v125 offset:3888
	ds_read_b128 v[24:27], v125 offset:10368
	;; [unrolled: 1-line block ×3, first 2 shown]
.LBB0_27:
	s_or_b64 exec, exec, s[2:3]
	s_waitcnt lgkmcnt(1)
	v_mul_f64 v[108:109], v[42:43], v[102:103]
	s_waitcnt lgkmcnt(0)
	v_mul_f64 v[110:111], v[38:39], v[106:107]
	v_mul_f64 v[42:43], v[42:43], v[100:101]
	;; [unrolled: 1-line block ×5, first 2 shown]
	s_mov_b32 s2, 0xe8584caa
	s_mov_b32 s3, 0xbfebb67a
	v_fma_f64 v[100:101], v[40:41], v[100:101], v[108:109]
	v_fma_f64 v[104:105], v[36:37], v[104:105], v[110:111]
	v_mul_f64 v[108:109], v[46:47], v[30:31]
	v_mul_f64 v[46:47], v[46:47], v[28:29]
	v_fma_f64 v[40:41], v[40:41], v[102:103], -v[42:43]
	v_fma_f64 v[38:39], v[36:37], v[106:107], -v[38:39]
	v_fma_f64 v[24:25], v[48:49], v[24:25], v[112:113]
	v_fma_f64 v[26:27], v[48:49], v[26:27], -v[50:51]
	v_add_f64 v[42:43], v[32:33], v[100:101]
	v_add_f64 v[36:37], v[100:101], v[104:105]
	v_fma_f64 v[28:29], v[44:45], v[28:29], v[108:109]
	v_fma_f64 v[30:31], v[44:45], v[30:31], -v[46:47]
	s_mov_b32 s8, s2
	v_add_f64 v[44:45], v[40:41], -v[38:39]
	v_add_f64 v[46:47], v[40:41], v[38:39]
	v_add_f64 v[50:51], v[34:35], v[40:41]
	v_add_f64 v[100:101], v[100:101], -v[104:105]
	v_fma_f64 v[48:49], v[36:37], -0.5, v[32:33]
	v_add_f64 v[102:103], v[24:25], v[28:29]
	v_add_f64 v[106:107], v[26:27], v[30:31]
	v_add_f64 v[32:33], v[42:43], v[104:105]
	v_add_f64 v[104:105], v[24:25], -v[28:29]
	v_fma_f64 v[42:43], v[46:47], -0.5, v[34:35]
	v_add_f64 v[34:35], v[50:51], v[38:39]
	v_fma_f64 v[36:37], v[44:45], s[2:3], v[48:49]
	v_fma_f64 v[40:41], v[44:45], s[8:9], v[48:49]
	v_add_f64 v[44:45], v[20:21], v[24:25]
	v_fma_f64 v[46:47], v[102:103], -0.5, v[20:21]
	v_add_f64 v[48:49], v[26:27], -v[30:31]
	v_add_f64 v[26:27], v[22:23], v[26:27]
	v_fma_f64 v[102:103], v[106:107], -0.5, v[22:23]
	v_fma_f64 v[38:39], v[100:101], s[8:9], v[42:43]
	v_fma_f64 v[42:43], v[100:101], s[2:3], v[42:43]
	s_barrier
	v_add_f64 v[20:21], v[44:45], v[28:29]
	v_fma_f64 v[24:25], v[48:49], s[2:3], v[46:47]
	v_fma_f64 v[28:29], v[48:49], s[8:9], v[46:47]
	v_add_f64 v[22:23], v[26:27], v[30:31]
	v_fma_f64 v[26:27], v[104:105], s[8:9], v[102:103]
	v_fma_f64 v[30:31], v[104:105], s[2:3], v[102:103]
	ds_write_b128 v133, v[32:35]
	ds_write_b128 v133, v[36:39] offset:240
	ds_write_b128 v133, v[40:43] offset:480
	s_and_saveexec_b64 s[2:3], s[0:1]
	s_cbranch_execz .LBB0_29
; %bb.28:
	v_lshlrev_b32_e32 v32, 4, v134
	ds_write_b128 v32, v[20:23]
	ds_write_b128 v32, v[24:27] offset:240
	ds_write_b128 v32, v[28:31] offset:480
.LBB0_29:
	s_or_b64 exec, exec, s[2:3]
	s_waitcnt lgkmcnt(0)
	s_barrier
	ds_read_b128 v[32:35], v125
	ds_read_b128 v[36:39], v125 offset:6480
	ds_read_b128 v[40:43], v125 offset:12960
	s_and_saveexec_b64 s[2:3], s[0:1]
	s_cbranch_execz .LBB0_31
; %bb.30:
	ds_read_b128 v[20:23], v125 offset:3888
	ds_read_b128 v[24:27], v125 offset:10368
	;; [unrolled: 1-line block ×3, first 2 shown]
.LBB0_31:
	s_or_b64 exec, exec, s[2:3]
	s_waitcnt lgkmcnt(1)
	v_mul_f64 v[44:45], v[66:67], v[38:39]
	s_waitcnt lgkmcnt(0)
	v_mul_f64 v[46:47], v[62:63], v[42:43]
	v_mul_f64 v[48:49], v[66:67], v[36:37]
	;; [unrolled: 1-line block ×5, first 2 shown]
	s_mov_b32 s2, 0xe8584caa
	s_mov_b32 s3, 0xbfebb67a
	v_fma_f64 v[36:37], v[64:65], v[36:37], v[44:45]
	v_fma_f64 v[40:41], v[60:61], v[40:41], v[46:47]
	v_mul_f64 v[44:45], v[54:55], v[30:31]
	v_mul_f64 v[46:47], v[54:55], v[28:29]
	v_fma_f64 v[38:39], v[64:65], v[38:39], -v[48:49]
	v_fma_f64 v[42:43], v[60:61], v[42:43], -v[50:51]
	v_fma_f64 v[24:25], v[56:57], v[24:25], v[62:63]
	v_fma_f64 v[26:27], v[56:57], v[26:27], -v[58:59]
	s_mov_b32 s8, s2
	v_add_f64 v[48:49], v[36:37], v[40:41]
	v_fma_f64 v[28:29], v[52:53], v[28:29], v[44:45]
	v_fma_f64 v[30:31], v[52:53], v[30:31], -v[46:47]
	v_add_f64 v[44:45], v[32:33], v[36:37]
	v_add_f64 v[46:47], v[38:39], -v[42:43]
	v_add_f64 v[50:51], v[38:39], v[42:43]
	v_add_f64 v[38:39], v[34:35], v[38:39]
	v_add_f64 v[54:55], v[36:37], -v[40:41]
	v_fma_f64 v[48:49], v[48:49], -0.5, v[32:33]
	v_add_f64 v[52:53], v[24:25], v[28:29]
	v_add_f64 v[56:57], v[26:27], v[30:31]
	v_add_f64 v[32:33], v[44:45], v[40:41]
	v_fma_f64 v[44:45], v[50:51], -0.5, v[34:35]
	v_add_f64 v[50:51], v[26:27], -v[30:31]
	v_add_f64 v[26:27], v[22:23], v[26:27]
	v_fma_f64 v[36:37], v[46:47], s[2:3], v[48:49]
	v_fma_f64 v[40:41], v[46:47], s[8:9], v[48:49]
	v_add_f64 v[46:47], v[20:21], v[24:25]
	v_fma_f64 v[48:49], v[52:53], -0.5, v[20:21]
	v_fma_f64 v[52:53], v[56:57], -0.5, v[22:23]
	v_add_f64 v[56:57], v[24:25], -v[28:29]
	v_add_f64 v[34:35], v[38:39], v[42:43]
	v_add_f64 v[22:23], v[26:27], v[30:31]
	v_fma_f64 v[38:39], v[54:55], s[8:9], v[44:45]
	v_fma_f64 v[42:43], v[54:55], s[2:3], v[44:45]
	v_add_f64 v[20:21], v[46:47], v[28:29]
	v_fma_f64 v[24:25], v[50:51], s[2:3], v[48:49]
	v_fma_f64 v[28:29], v[50:51], s[8:9], v[48:49]
	;; [unrolled: 1-line block ×4, first 2 shown]
	s_barrier
	ds_write_b128 v137, v[32:35]
	ds_write_b128 v137, v[36:39] offset:720
	ds_write_b128 v137, v[40:43] offset:1440
	s_and_saveexec_b64 s[2:3], s[0:1]
	s_cbranch_execz .LBB0_33
; %bb.32:
	s_movk_i32 s8, 0x87
	v_mad_legacy_u16 v32, v131, s8, v132
	v_lshlrev_b32_e32 v32, 4, v32
	ds_write_b128 v32, v[20:23]
	ds_write_b128 v32, v[24:27] offset:720
	ds_write_b128 v32, v[28:31] offset:1440
.LBB0_33:
	s_or_b64 exec, exec, s[2:3]
	s_waitcnt lgkmcnt(0)
	s_barrier
	ds_read_b128 v[32:35], v125
	ds_read_b128 v[36:39], v125 offset:6480
	ds_read_b128 v[40:43], v125 offset:12960
	s_and_saveexec_b64 s[2:3], s[0:1]
	s_cbranch_execz .LBB0_35
; %bb.34:
	ds_read_b128 v[20:23], v125 offset:3888
	ds_read_b128 v[24:27], v125 offset:10368
	;; [unrolled: 1-line block ×3, first 2 shown]
.LBB0_35:
	s_or_b64 exec, exec, s[2:3]
	s_waitcnt lgkmcnt(1)
	v_mul_f64 v[44:45], v[74:75], v[38:39]
	s_waitcnt lgkmcnt(0)
	v_mul_f64 v[46:47], v[70:71], v[42:43]
	v_mul_f64 v[48:49], v[74:75], v[36:37]
	;; [unrolled: 1-line block ×5, first 2 shown]
	s_mov_b32 s2, 0xe8584caa
	s_mov_b32 s3, 0xbfebb67a
	v_fma_f64 v[36:37], v[72:73], v[36:37], v[44:45]
	v_fma_f64 v[40:41], v[68:69], v[40:41], v[46:47]
	v_mul_f64 v[44:45], v[78:79], v[30:31]
	v_mul_f64 v[46:47], v[78:79], v[28:29]
	v_fma_f64 v[38:39], v[72:73], v[38:39], -v[48:49]
	v_fma_f64 v[42:43], v[68:69], v[42:43], -v[50:51]
	v_fma_f64 v[24:25], v[80:81], v[24:25], v[52:53]
	v_fma_f64 v[26:27], v[80:81], v[26:27], -v[54:55]
	s_mov_b32 s8, s2
	v_add_f64 v[48:49], v[36:37], v[40:41]
	v_fma_f64 v[28:29], v[76:77], v[28:29], v[44:45]
	v_fma_f64 v[30:31], v[76:77], v[30:31], -v[46:47]
	v_add_f64 v[44:45], v[32:33], v[36:37]
	v_add_f64 v[46:47], v[38:39], -v[42:43]
	v_add_f64 v[50:51], v[38:39], v[42:43]
	v_add_f64 v[38:39], v[34:35], v[38:39]
	v_add_f64 v[54:55], v[36:37], -v[40:41]
	v_fma_f64 v[48:49], v[48:49], -0.5, v[32:33]
	v_add_f64 v[52:53], v[24:25], v[28:29]
	v_add_f64 v[56:57], v[26:27], v[30:31]
	;; [unrolled: 1-line block ×3, first 2 shown]
	v_fma_f64 v[44:45], v[50:51], -0.5, v[34:35]
	v_add_f64 v[50:51], v[26:27], -v[30:31]
	v_add_f64 v[26:27], v[22:23], v[26:27]
	v_fma_f64 v[36:37], v[46:47], s[2:3], v[48:49]
	v_fma_f64 v[40:41], v[46:47], s[8:9], v[48:49]
	v_add_f64 v[46:47], v[20:21], v[24:25]
	v_fma_f64 v[48:49], v[52:53], -0.5, v[20:21]
	v_fma_f64 v[52:53], v[56:57], -0.5, v[22:23]
	v_add_f64 v[56:57], v[24:25], -v[28:29]
	v_add_f64 v[34:35], v[38:39], v[42:43]
	v_add_f64 v[22:23], v[26:27], v[30:31]
	v_fma_f64 v[38:39], v[54:55], s[8:9], v[44:45]
	v_fma_f64 v[42:43], v[54:55], s[2:3], v[44:45]
	v_add_f64 v[20:21], v[46:47], v[28:29]
	v_fma_f64 v[24:25], v[50:51], s[2:3], v[48:49]
	v_fma_f64 v[28:29], v[50:51], s[8:9], v[48:49]
	;; [unrolled: 1-line block ×4, first 2 shown]
	s_barrier
	ds_write_b128 v138, v[32:35]
	ds_write_b128 v138, v[36:39] offset:2160
	ds_write_b128 v138, v[40:43] offset:4320
	s_and_saveexec_b64 s[2:3], s[0:1]
	s_cbranch_execz .LBB0_37
; %bb.36:
	s_movk_i32 s8, 0x195
	v_mad_legacy_u16 v32, v135, s8, v136
	v_lshlrev_b32_e32 v32, 4, v32
	ds_write_b128 v32, v[20:23]
	ds_write_b128 v32, v[24:27] offset:2160
	ds_write_b128 v32, v[28:31] offset:4320
.LBB0_37:
	s_or_b64 exec, exec, s[2:3]
	s_waitcnt lgkmcnt(0)
	s_barrier
	ds_read_b128 v[32:35], v125
	ds_read_b128 v[40:43], v125 offset:6480
	ds_read_b128 v[36:39], v125 offset:12960
	s_and_saveexec_b64 s[2:3], s[0:1]
	s_cbranch_execz .LBB0_39
; %bb.38:
	ds_read_b128 v[20:23], v125 offset:3888
	ds_read_b128 v[24:27], v125 offset:10368
	;; [unrolled: 1-line block ×3, first 2 shown]
.LBB0_39:
	s_or_b64 exec, exec, s[2:3]
	s_waitcnt lgkmcnt(1)
	v_mul_f64 v[44:45], v[94:95], v[42:43]
	v_mul_f64 v[46:47], v[94:95], v[40:41]
	s_waitcnt lgkmcnt(0)
	v_mul_f64 v[48:49], v[98:99], v[38:39]
	v_mul_f64 v[50:51], v[98:99], v[36:37]
	s_mov_b32 s2, 0xe8584caa
	s_mov_b32 s3, 0xbfebb67a
	s_mov_b32 s8, s2
	v_fma_f64 v[40:41], v[92:93], v[40:41], v[44:45]
	v_fma_f64 v[42:43], v[92:93], v[42:43], -v[46:47]
	v_fma_f64 v[36:37], v[96:97], v[36:37], v[48:49]
	v_fma_f64 v[38:39], v[96:97], v[38:39], -v[50:51]
	v_add_f64 v[48:49], v[32:33], v[40:41]
	v_add_f64 v[44:45], v[40:41], v[36:37]
	;; [unrolled: 1-line block ×3, first 2 shown]
	v_add_f64 v[50:51], v[42:43], -v[38:39]
	v_add_f64 v[42:43], v[34:35], v[42:43]
	v_add_f64 v[52:53], v[40:41], -v[36:37]
	v_fma_f64 v[40:41], v[44:45], -0.5, v[32:33]
	v_fma_f64 v[44:45], v[46:47], -0.5, v[34:35]
	v_add_f64 v[32:33], v[48:49], v[36:37]
	v_add_f64 v[34:35], v[42:43], v[38:39]
	v_fma_f64 v[36:37], v[50:51], s[2:3], v[40:41]
	v_fma_f64 v[38:39], v[52:53], s[8:9], v[44:45]
	;; [unrolled: 1-line block ×4, first 2 shown]
	ds_write_b128 v125, v[32:35]
	ds_write_b128 v125, v[36:39] offset:6480
	ds_write_b128 v125, v[40:43] offset:12960
	s_and_saveexec_b64 s[10:11], s[0:1]
	s_cbranch_execz .LBB0_41
; %bb.40:
	v_mul_f64 v[32:33], v[86:87], v[24:25]
	v_mul_f64 v[34:35], v[90:91], v[28:29]
	;; [unrolled: 1-line block ×4, first 2 shown]
	v_fma_f64 v[26:27], v[84:85], v[26:27], -v[32:33]
	v_fma_f64 v[30:31], v[88:89], v[30:31], -v[34:35]
	v_fma_f64 v[24:25], v[84:85], v[24:25], v[36:37]
	v_fma_f64 v[28:29], v[88:89], v[28:29], v[38:39]
	v_add_f64 v[38:39], v[22:23], v[26:27]
	v_add_f64 v[32:33], v[26:27], v[30:31]
	v_add_f64 v[40:41], v[26:27], -v[30:31]
	v_add_f64 v[34:35], v[24:25], v[28:29]
	v_add_f64 v[36:37], v[24:25], -v[28:29]
	v_add_f64 v[24:25], v[20:21], v[24:25]
	v_fma_f64 v[32:33], v[32:33], -0.5, v[22:23]
	v_add_f64 v[22:23], v[38:39], v[30:31]
	v_fma_f64 v[34:35], v[34:35], -0.5, v[20:21]
	v_add_f64 v[20:21], v[24:25], v[28:29]
	v_fma_f64 v[30:31], v[36:37], s[8:9], v[32:33]
	v_fma_f64 v[26:27], v[36:37], s[2:3], v[32:33]
	;; [unrolled: 1-line block ×4, first 2 shown]
	ds_write_b128 v125, v[20:23] offset:3888
	ds_write_b128 v125, v[28:31] offset:10368
	;; [unrolled: 1-line block ×3, first 2 shown]
.LBB0_41:
	s_or_b64 exec, exec, s[10:11]
	s_waitcnt lgkmcnt(0)
	s_barrier
	ds_read_b128 v[20:23], v125
	ds_read_b128 v[24:27], v125 offset:3888
	v_mad_u64_u32 v[28:29], s[0:1], s6, v124, 0
	s_mul_i32 s2, s5, 0xf30
	s_waitcnt lgkmcnt(1)
	v_mul_f64 v[30:31], v[18:19], v[22:23]
	v_mul_f64 v[18:19], v[18:19], v[20:21]
	s_mul_hi_u32 s3, s4, 0xf30
	s_add_i32 s2, s3, s2
	s_mul_i32 s3, s4, 0xf30
	v_mad_u64_u32 v[32:33], s[0:1], s7, v124, v[29:30]
	v_mad_u64_u32 v[33:34], s[0:1], s4, v126, 0
	v_fma_f64 v[20:21], v[16:17], v[20:21], v[30:31]
	v_fma_f64 v[18:19], v[16:17], v[22:23], -v[18:19]
	v_mov_b32_e32 v16, v34
	v_mad_u64_u32 v[22:23], s[0:1], s5, v126, v[16:17]
	s_mov_b32 s0, 0x40e53dbc
	s_mov_b32 s1, 0x3f4af834
	v_mov_b32_e32 v34, v22
	s_waitcnt lgkmcnt(0)
	v_mul_f64 v[22:23], v[10:11], v[26:27]
	v_mul_f64 v[10:11], v[10:11], v[24:25]
	v_mov_b32_e32 v29, v32
	v_mul_f64 v[16:17], v[20:21], s[0:1]
	v_mul_f64 v[18:19], v[18:19], s[0:1]
	v_lshlrev_b64 v[20:21], 4, v[28:29]
	v_mov_b32_e32 v28, s13
	v_add_co_u32_e32 v29, vcc, s12, v20
	v_fma_f64 v[22:23], v[8:9], v[24:25], v[22:23]
	v_fma_f64 v[24:25], v[8:9], v[26:27], -v[10:11]
	ds_read_b128 v[8:11], v125 offset:7776
	v_addc_co_u32_e32 v28, vcc, v28, v21, vcc
	v_lshlrev_b64 v[20:21], 4, v[33:34]
	v_add_co_u32_e32 v26, vcc, v29, v20
	v_addc_co_u32_e32 v27, vcc, v28, v21, vcc
	global_store_dwordx4 v[26:27], v[16:19], off
	s_nop 0
	v_mul_f64 v[16:17], v[22:23], s[0:1]
	ds_read_b128 v[20:23], v125 offset:11664
	s_waitcnt lgkmcnt(1)
	v_mul_f64 v[28:29], v[6:7], v[10:11]
	v_mul_f64 v[6:7], v[6:7], v[8:9]
	;; [unrolled: 1-line block ×3, first 2 shown]
	v_mov_b32_e32 v25, s2
	v_add_co_u32_e32 v24, vcc, s3, v26
	v_addc_co_u32_e32 v25, vcc, v27, v25, vcc
	v_fma_f64 v[8:9], v[4:5], v[8:9], v[28:29]
	v_fma_f64 v[10:11], v[4:5], v[10:11], -v[6:7]
	ds_read_b128 v[4:7], v125 offset:15552
	s_waitcnt lgkmcnt(1)
	v_mul_f64 v[26:27], v[2:3], v[22:23]
	v_mul_f64 v[2:3], v[2:3], v[20:21]
	global_store_dwordx4 v[24:25], v[16:19], off
	s_waitcnt lgkmcnt(0)
	v_mul_f64 v[28:29], v[14:15], v[6:7]
	v_mul_f64 v[14:15], v[14:15], v[4:5]
	;; [unrolled: 1-line block ×4, first 2 shown]
	v_fma_f64 v[16:17], v[0:1], v[20:21], v[26:27]
	v_fma_f64 v[2:3], v[0:1], v[22:23], -v[2:3]
	v_mov_b32_e32 v18, s2
	v_fma_f64 v[4:5], v[12:13], v[4:5], v[28:29]
	v_fma_f64 v[6:7], v[12:13], v[6:7], -v[14:15]
	v_add_co_u32_e32 v12, vcc, s3, v24
	v_mul_f64 v[0:1], v[16:17], s[0:1]
	v_mul_f64 v[2:3], v[2:3], s[0:1]
	v_addc_co_u32_e32 v13, vcc, v25, v18, vcc
	v_mul_f64 v[4:5], v[4:5], s[0:1]
	v_mul_f64 v[6:7], v[6:7], s[0:1]
	global_store_dwordx4 v[12:13], v[8:11], off
	s_nop 0
	v_mov_b32_e32 v9, s2
	v_add_co_u32_e32 v8, vcc, s3, v12
	v_addc_co_u32_e32 v9, vcc, v13, v9, vcc
	global_store_dwordx4 v[8:9], v[0:3], off
	s_nop 0
	v_mov_b32_e32 v1, s2
	v_add_co_u32_e32 v0, vcc, s3, v8
	v_addc_co_u32_e32 v1, vcc, v9, v1, vcc
	global_store_dwordx4 v[0:1], v[4:7], off
.LBB0_42:
	s_endpgm
	.section	.rodata,"a",@progbits
	.p2align	6, 0x0
	.amdhsa_kernel bluestein_single_fwd_len1215_dim1_dp_op_CI_CI
		.amdhsa_group_segment_fixed_size 19440
		.amdhsa_private_segment_fixed_size 0
		.amdhsa_kernarg_size 104
		.amdhsa_user_sgpr_count 6
		.amdhsa_user_sgpr_private_segment_buffer 1
		.amdhsa_user_sgpr_dispatch_ptr 0
		.amdhsa_user_sgpr_queue_ptr 0
		.amdhsa_user_sgpr_kernarg_segment_ptr 1
		.amdhsa_user_sgpr_dispatch_id 0
		.amdhsa_user_sgpr_flat_scratch_init 0
		.amdhsa_user_sgpr_private_segment_size 0
		.amdhsa_uses_dynamic_stack 0
		.amdhsa_system_sgpr_private_segment_wavefront_offset 0
		.amdhsa_system_sgpr_workgroup_id_x 1
		.amdhsa_system_sgpr_workgroup_id_y 0
		.amdhsa_system_sgpr_workgroup_id_z 0
		.amdhsa_system_sgpr_workgroup_info 0
		.amdhsa_system_vgpr_workitem_id 0
		.amdhsa_next_free_vgpr 171
		.amdhsa_next_free_sgpr 24
		.amdhsa_reserve_vcc 1
		.amdhsa_reserve_flat_scratch 0
		.amdhsa_float_round_mode_32 0
		.amdhsa_float_round_mode_16_64 0
		.amdhsa_float_denorm_mode_32 3
		.amdhsa_float_denorm_mode_16_64 3
		.amdhsa_dx10_clamp 1
		.amdhsa_ieee_mode 1
		.amdhsa_fp16_overflow 0
		.amdhsa_exception_fp_ieee_invalid_op 0
		.amdhsa_exception_fp_denorm_src 0
		.amdhsa_exception_fp_ieee_div_zero 0
		.amdhsa_exception_fp_ieee_overflow 0
		.amdhsa_exception_fp_ieee_underflow 0
		.amdhsa_exception_fp_ieee_inexact 0
		.amdhsa_exception_int_div_zero 0
	.end_amdhsa_kernel
	.text
.Lfunc_end0:
	.size	bluestein_single_fwd_len1215_dim1_dp_op_CI_CI, .Lfunc_end0-bluestein_single_fwd_len1215_dim1_dp_op_CI_CI
                                        ; -- End function
	.section	.AMDGPU.csdata,"",@progbits
; Kernel info:
; codeLenInByte = 8752
; NumSgprs: 28
; NumVgprs: 171
; ScratchSize: 0
; MemoryBound: 0
; FloatMode: 240
; IeeeMode: 1
; LDSByteSize: 19440 bytes/workgroup (compile time only)
; SGPRBlocks: 3
; VGPRBlocks: 42
; NumSGPRsForWavesPerEU: 28
; NumVGPRsForWavesPerEU: 171
; Occupancy: 1
; WaveLimiterHint : 1
; COMPUTE_PGM_RSRC2:SCRATCH_EN: 0
; COMPUTE_PGM_RSRC2:USER_SGPR: 6
; COMPUTE_PGM_RSRC2:TRAP_HANDLER: 0
; COMPUTE_PGM_RSRC2:TGID_X_EN: 1
; COMPUTE_PGM_RSRC2:TGID_Y_EN: 0
; COMPUTE_PGM_RSRC2:TGID_Z_EN: 0
; COMPUTE_PGM_RSRC2:TIDIG_COMP_CNT: 0
	.type	__hip_cuid_b09de53d3586cf02,@object ; @__hip_cuid_b09de53d3586cf02
	.section	.bss,"aw",@nobits
	.globl	__hip_cuid_b09de53d3586cf02
__hip_cuid_b09de53d3586cf02:
	.byte	0                               ; 0x0
	.size	__hip_cuid_b09de53d3586cf02, 1

	.ident	"AMD clang version 19.0.0git (https://github.com/RadeonOpenCompute/llvm-project roc-6.4.0 25133 c7fe45cf4b819c5991fe208aaa96edf142730f1d)"
	.section	".note.GNU-stack","",@progbits
	.addrsig
	.addrsig_sym __hip_cuid_b09de53d3586cf02
	.amdgpu_metadata
---
amdhsa.kernels:
  - .args:
      - .actual_access:  read_only
        .address_space:  global
        .offset:         0
        .size:           8
        .value_kind:     global_buffer
      - .actual_access:  read_only
        .address_space:  global
        .offset:         8
        .size:           8
        .value_kind:     global_buffer
      - .actual_access:  read_only
        .address_space:  global
        .offset:         16
        .size:           8
        .value_kind:     global_buffer
      - .actual_access:  read_only
        .address_space:  global
        .offset:         24
        .size:           8
        .value_kind:     global_buffer
      - .actual_access:  read_only
        .address_space:  global
        .offset:         32
        .size:           8
        .value_kind:     global_buffer
      - .offset:         40
        .size:           8
        .value_kind:     by_value
      - .address_space:  global
        .offset:         48
        .size:           8
        .value_kind:     global_buffer
      - .address_space:  global
        .offset:         56
        .size:           8
        .value_kind:     global_buffer
      - .address_space:  global
        .offset:         64
        .size:           8
        .value_kind:     global_buffer
      - .address_space:  global
        .offset:         72
        .size:           8
        .value_kind:     global_buffer
      - .offset:         80
        .size:           4
        .value_kind:     by_value
      - .address_space:  global
        .offset:         88
        .size:           8
        .value_kind:     global_buffer
      - .address_space:  global
        .offset:         96
        .size:           8
        .value_kind:     global_buffer
    .group_segment_fixed_size: 19440
    .kernarg_segment_align: 8
    .kernarg_segment_size: 104
    .language:       OpenCL C
    .language_version:
      - 2
      - 0
    .max_flat_workgroup_size: 243
    .name:           bluestein_single_fwd_len1215_dim1_dp_op_CI_CI
    .private_segment_fixed_size: 0
    .sgpr_count:     28
    .sgpr_spill_count: 0
    .symbol:         bluestein_single_fwd_len1215_dim1_dp_op_CI_CI.kd
    .uniform_work_group_size: 1
    .uses_dynamic_stack: false
    .vgpr_count:     171
    .vgpr_spill_count: 0
    .wavefront_size: 64
amdhsa.target:   amdgcn-amd-amdhsa--gfx906
amdhsa.version:
  - 1
  - 2
...

	.end_amdgpu_metadata
